;; amdgpu-corpus repo=ROCm/rocFFT kind=compiled arch=gfx1030 opt=O3
	.text
	.amdgcn_target "amdgcn-amd-amdhsa--gfx1030"
	.amdhsa_code_object_version 6
	.protected	fft_rtc_back_len2048_factors_16_16_8_wgs_256_tpt_256_halfLds_half_ip_CI_unitstride_sbrr_C2R_dirReg ; -- Begin function fft_rtc_back_len2048_factors_16_16_8_wgs_256_tpt_256_halfLds_half_ip_CI_unitstride_sbrr_C2R_dirReg
	.globl	fft_rtc_back_len2048_factors_16_16_8_wgs_256_tpt_256_halfLds_half_ip_CI_unitstride_sbrr_C2R_dirReg
	.p2align	8
	.type	fft_rtc_back_len2048_factors_16_16_8_wgs_256_tpt_256_halfLds_half_ip_CI_unitstride_sbrr_C2R_dirReg,@function
fft_rtc_back_len2048_factors_16_16_8_wgs_256_tpt_256_halfLds_half_ip_CI_unitstride_sbrr_C2R_dirReg: ; @fft_rtc_back_len2048_factors_16_16_8_wgs_256_tpt_256_halfLds_half_ip_CI_unitstride_sbrr_C2R_dirReg
; %bb.0:
	s_clause 0x2
	s_load_dwordx4 s[8:11], s[4:5], 0x0
	s_load_dwordx2 s[2:3], s[4:5], 0x50
	s_load_dwordx2 s[12:13], s[4:5], 0x18
	v_mov_b32_e32 v3, 0
	v_mov_b32_e32 v1, 0
	v_mov_b32_e32 v5, s6
	v_mov_b32_e32 v2, 0
	v_mov_b32_e32 v6, v3
	s_waitcnt lgkmcnt(0)
	v_cmp_lt_u64_e64 s0, s[10:11], 2
	s_and_b32 vcc_lo, exec_lo, s0
	s_cbranch_vccnz .LBB0_8
; %bb.1:
	s_load_dwordx2 s[0:1], s[4:5], 0x10
	v_mov_b32_e32 v1, 0
	s_add_u32 s6, s12, 8
	v_mov_b32_e32 v2, 0
	s_addc_u32 s7, s13, 0
	s_mov_b64 s[16:17], 1
	s_waitcnt lgkmcnt(0)
	s_add_u32 s14, s0, 8
	s_addc_u32 s15, s1, 0
.LBB0_2:                                ; =>This Inner Loop Header: Depth=1
	s_load_dwordx2 s[18:19], s[14:15], 0x0
                                        ; implicit-def: $vgpr7_vgpr8
	s_mov_b32 s0, exec_lo
	s_waitcnt lgkmcnt(0)
	v_or_b32_e32 v4, s19, v6
	v_cmpx_ne_u64_e32 0, v[3:4]
	s_xor_b32 s1, exec_lo, s0
	s_cbranch_execz .LBB0_4
; %bb.3:                                ;   in Loop: Header=BB0_2 Depth=1
	v_cvt_f32_u32_e32 v4, s18
	v_cvt_f32_u32_e32 v7, s19
	s_sub_u32 s0, 0, s18
	s_subb_u32 s20, 0, s19
	v_fmac_f32_e32 v4, 0x4f800000, v7
	v_rcp_f32_e32 v4, v4
	v_mul_f32_e32 v4, 0x5f7ffffc, v4
	v_mul_f32_e32 v7, 0x2f800000, v4
	v_trunc_f32_e32 v7, v7
	v_fmac_f32_e32 v4, 0xcf800000, v7
	v_cvt_u32_f32_e32 v7, v7
	v_cvt_u32_f32_e32 v4, v4
	v_mul_lo_u32 v8, s0, v7
	v_mul_hi_u32 v9, s0, v4
	v_mul_lo_u32 v10, s20, v4
	v_add_nc_u32_e32 v8, v9, v8
	v_mul_lo_u32 v9, s0, v4
	v_add_nc_u32_e32 v8, v8, v10
	v_mul_hi_u32 v10, v4, v9
	v_mul_lo_u32 v11, v4, v8
	v_mul_hi_u32 v12, v4, v8
	v_mul_hi_u32 v13, v7, v9
	v_mul_lo_u32 v9, v7, v9
	v_mul_hi_u32 v14, v7, v8
	v_mul_lo_u32 v8, v7, v8
	v_add_co_u32 v10, vcc_lo, v10, v11
	v_add_co_ci_u32_e32 v11, vcc_lo, 0, v12, vcc_lo
	v_add_co_u32 v9, vcc_lo, v10, v9
	v_add_co_ci_u32_e32 v9, vcc_lo, v11, v13, vcc_lo
	v_add_co_ci_u32_e32 v10, vcc_lo, 0, v14, vcc_lo
	v_add_co_u32 v8, vcc_lo, v9, v8
	v_add_co_ci_u32_e32 v9, vcc_lo, 0, v10, vcc_lo
	v_add_co_u32 v4, vcc_lo, v4, v8
	v_add_co_ci_u32_e32 v7, vcc_lo, v7, v9, vcc_lo
	v_mul_hi_u32 v8, s0, v4
	v_mul_lo_u32 v10, s20, v4
	v_mul_lo_u32 v9, s0, v7
	v_add_nc_u32_e32 v8, v8, v9
	v_mul_lo_u32 v9, s0, v4
	v_add_nc_u32_e32 v8, v8, v10
	v_mul_hi_u32 v10, v4, v9
	v_mul_lo_u32 v11, v4, v8
	v_mul_hi_u32 v12, v4, v8
	v_mul_hi_u32 v13, v7, v9
	v_mul_lo_u32 v9, v7, v9
	v_mul_hi_u32 v14, v7, v8
	v_mul_lo_u32 v8, v7, v8
	v_add_co_u32 v10, vcc_lo, v10, v11
	v_add_co_ci_u32_e32 v11, vcc_lo, 0, v12, vcc_lo
	v_add_co_u32 v9, vcc_lo, v10, v9
	v_add_co_ci_u32_e32 v9, vcc_lo, v11, v13, vcc_lo
	v_add_co_ci_u32_e32 v10, vcc_lo, 0, v14, vcc_lo
	v_add_co_u32 v8, vcc_lo, v9, v8
	v_add_co_ci_u32_e32 v9, vcc_lo, 0, v10, vcc_lo
	v_add_co_u32 v4, vcc_lo, v4, v8
	v_add_co_ci_u32_e32 v11, vcc_lo, v7, v9, vcc_lo
	v_mul_hi_u32 v13, v5, v4
	v_mad_u64_u32 v[9:10], null, v6, v4, 0
	v_mad_u64_u32 v[7:8], null, v5, v11, 0
	;; [unrolled: 1-line block ×3, first 2 shown]
	v_add_co_u32 v4, vcc_lo, v13, v7
	v_add_co_ci_u32_e32 v7, vcc_lo, 0, v8, vcc_lo
	v_add_co_u32 v4, vcc_lo, v4, v9
	v_add_co_ci_u32_e32 v4, vcc_lo, v7, v10, vcc_lo
	v_add_co_ci_u32_e32 v7, vcc_lo, 0, v12, vcc_lo
	v_add_co_u32 v4, vcc_lo, v4, v11
	v_add_co_ci_u32_e32 v9, vcc_lo, 0, v7, vcc_lo
	v_mul_lo_u32 v10, s19, v4
	v_mad_u64_u32 v[7:8], null, s18, v4, 0
	v_mul_lo_u32 v11, s18, v9
	v_sub_co_u32 v7, vcc_lo, v5, v7
	v_add3_u32 v8, v8, v11, v10
	v_sub_nc_u32_e32 v10, v6, v8
	v_subrev_co_ci_u32_e64 v10, s0, s19, v10, vcc_lo
	v_add_co_u32 v11, s0, v4, 2
	v_add_co_ci_u32_e64 v12, s0, 0, v9, s0
	v_sub_co_u32 v13, s0, v7, s18
	v_sub_co_ci_u32_e32 v8, vcc_lo, v6, v8, vcc_lo
	v_subrev_co_ci_u32_e64 v10, s0, 0, v10, s0
	v_cmp_le_u32_e32 vcc_lo, s18, v13
	v_cmp_eq_u32_e64 s0, s19, v8
	v_cndmask_b32_e64 v13, 0, -1, vcc_lo
	v_cmp_le_u32_e32 vcc_lo, s19, v10
	v_cndmask_b32_e64 v14, 0, -1, vcc_lo
	v_cmp_le_u32_e32 vcc_lo, s18, v7
	;; [unrolled: 2-line block ×3, first 2 shown]
	v_cndmask_b32_e64 v15, 0, -1, vcc_lo
	v_cmp_eq_u32_e32 vcc_lo, s19, v10
	v_cndmask_b32_e64 v7, v15, v7, s0
	v_cndmask_b32_e32 v10, v14, v13, vcc_lo
	v_add_co_u32 v13, vcc_lo, v4, 1
	v_add_co_ci_u32_e32 v14, vcc_lo, 0, v9, vcc_lo
	v_cmp_ne_u32_e32 vcc_lo, 0, v10
	v_cndmask_b32_e32 v8, v14, v12, vcc_lo
	v_cndmask_b32_e32 v10, v13, v11, vcc_lo
	v_cmp_ne_u32_e32 vcc_lo, 0, v7
	v_cndmask_b32_e32 v8, v9, v8, vcc_lo
	v_cndmask_b32_e32 v7, v4, v10, vcc_lo
.LBB0_4:                                ;   in Loop: Header=BB0_2 Depth=1
	s_andn2_saveexec_b32 s0, s1
	s_cbranch_execz .LBB0_6
; %bb.5:                                ;   in Loop: Header=BB0_2 Depth=1
	v_cvt_f32_u32_e32 v4, s18
	s_sub_i32 s1, 0, s18
	v_rcp_iflag_f32_e32 v4, v4
	v_mul_f32_e32 v4, 0x4f7ffffe, v4
	v_cvt_u32_f32_e32 v4, v4
	v_mul_lo_u32 v7, s1, v4
	v_mul_hi_u32 v7, v4, v7
	v_add_nc_u32_e32 v4, v4, v7
	v_mul_hi_u32 v4, v5, v4
	v_mul_lo_u32 v7, v4, s18
	v_add_nc_u32_e32 v8, 1, v4
	v_sub_nc_u32_e32 v7, v5, v7
	v_subrev_nc_u32_e32 v9, s18, v7
	v_cmp_le_u32_e32 vcc_lo, s18, v7
	v_cndmask_b32_e32 v7, v7, v9, vcc_lo
	v_cndmask_b32_e32 v4, v4, v8, vcc_lo
	v_cmp_le_u32_e32 vcc_lo, s18, v7
	v_add_nc_u32_e32 v8, 1, v4
	v_cndmask_b32_e32 v7, v4, v8, vcc_lo
	v_mov_b32_e32 v8, v3
.LBB0_6:                                ;   in Loop: Header=BB0_2 Depth=1
	s_or_b32 exec_lo, exec_lo, s0
	s_load_dwordx2 s[0:1], s[6:7], 0x0
	v_mul_lo_u32 v4, v8, s18
	v_mul_lo_u32 v11, v7, s19
	v_mad_u64_u32 v[9:10], null, v7, s18, 0
	s_add_u32 s16, s16, 1
	s_addc_u32 s17, s17, 0
	s_add_u32 s6, s6, 8
	s_addc_u32 s7, s7, 0
	;; [unrolled: 2-line block ×3, first 2 shown]
	v_add3_u32 v4, v10, v11, v4
	v_sub_co_u32 v5, vcc_lo, v5, v9
	v_sub_co_ci_u32_e32 v4, vcc_lo, v6, v4, vcc_lo
	s_waitcnt lgkmcnt(0)
	v_mul_lo_u32 v6, s1, v5
	v_mul_lo_u32 v4, s0, v4
	v_mad_u64_u32 v[1:2], null, s0, v5, v[1:2]
	v_cmp_ge_u64_e64 s0, s[16:17], s[10:11]
	s_and_b32 vcc_lo, exec_lo, s0
	v_add3_u32 v2, v6, v2, v4
	s_cbranch_vccnz .LBB0_9
; %bb.7:                                ;   in Loop: Header=BB0_2 Depth=1
	v_mov_b32_e32 v5, v7
	v_mov_b32_e32 v6, v8
	s_branch .LBB0_2
.LBB0_8:
	v_mov_b32_e32 v8, v6
	v_mov_b32_e32 v7, v5
.LBB0_9:
	s_lshl_b64 s[0:1], s[10:11], 3
	v_lshlrev_b32_e32 v18, 2, v0
	s_add_u32 s0, s12, s0
	s_addc_u32 s1, s13, s1
	s_load_dwordx2 s[0:1], s[0:1], 0x0
	s_load_dwordx2 s[4:5], s[4:5], 0x20
	s_waitcnt lgkmcnt(0)
	v_mul_lo_u32 v3, s0, v8
	v_mul_lo_u32 v4, s1, v7
	v_mad_u64_u32 v[1:2], null, s0, v7, v[1:2]
	v_cmp_gt_u64_e32 vcc_lo, s[4:5], v[7:8]
	v_add3_u32 v2, v4, v2, v3
	v_mov_b32_e32 v3, v0
	v_lshlrev_b64 v[1:2], 2, v[1:2]
	s_and_saveexec_b32 s1, vcc_lo
	s_cbranch_execz .LBB0_13
; %bb.10:
	v_add_co_u32 v3, s0, s2, v1
	v_add_co_ci_u32_e64 v5, s0, s3, v2, s0
	v_or_b32_e32 v4, 0x800, v18
	v_add_co_u32 v6, s0, v3, v18
	v_or_b32_e32 v19, 0xc00, v18
	v_add_co_ci_u32_e64 v7, s0, 0, v5, s0
	v_add_co_u32 v8, s0, v3, v4
	v_or_b32_e32 v4, 0x1000, v18
	v_add_co_ci_u32_e64 v9, s0, 0, v5, s0
	;; [unrolled: 3-line block ×5, first 2 shown]
	v_add_co_u32 v16, s0, v3, v4
	v_add_co_ci_u32_e64 v17, s0, 0, v5, s0
	v_add_co_u32 v4, s0, v3, v20
	v_add_co_ci_u32_e64 v5, s0, 0, v5, s0
	s_clause 0x7
	global_load_dword v21, v[6:7], off
	global_load_dword v7, v[6:7], off offset:1024
	global_load_dword v8, v[8:9], off
	global_load_dword v9, v[10:11], off
	;; [unrolled: 1-line block ×6, first 2 shown]
	v_add_nc_u32_e32 v14, 0, v18
	v_mov_b32_e32 v3, v0
	v_add_nc_u32_e32 v6, 0, v20
	v_add_nc_u32_e32 v15, 0, v19
	s_mov_b32 s4, exec_lo
	s_waitcnt vmcnt(6)
	ds_write2st64_b32 v14, v21, v7 offset1:4
	s_waitcnt vmcnt(4)
	ds_write_b32 v15, v9
	s_waitcnt vmcnt(3)
	ds_write2st64_b32 v14, v8, v10 offset0:8 offset1:16
	s_waitcnt vmcnt(1)
	ds_write2st64_b32 v14, v11, v12 offset0:20 offset1:24
	s_waitcnt vmcnt(0)
	ds_write_b32 v6, v13
	v_cmpx_eq_u32_e32 0xff, v0
	s_cbranch_execz .LBB0_12
; %bb.11:
	global_load_dword v4, v[4:5], off offset:4
	v_mov_b32_e32 v3, 0xff
	s_waitcnt vmcnt(0)
	ds_write_b32 v6, v4 offset:4
.LBB0_12:
	s_or_b32 exec_lo, exec_lo, s4
.LBB0_13:
	s_or_b32 exec_lo, exec_lo, s1
	v_lshlrev_b32_e32 v9, 2, v3
	s_waitcnt lgkmcnt(0)
	s_barrier
	buffer_gl0_inv
	v_cmp_ne_u32_e64 s0, 0, v3
	v_add_nc_u32_e32 v16, 0, v9
	v_sub_nc_u32_e32 v6, 0, v9
	s_add_u32 s4, s8, 0x1fc0
	s_addc_u32 s5, s9, 0
	ds_read_u16 v4, v16
	ds_read_u16 v5, v6 offset:8192
	s_waitcnt lgkmcnt(0)
	v_add_f16_e32 v8, v5, v4
	v_sub_f16_e32 v7, v4, v5
                                        ; implicit-def: $vgpr4_vgpr5
	s_and_saveexec_b32 s1, s0
	s_xor_b32 s0, exec_lo, s1
	s_cbranch_execz .LBB0_15
; %bb.14:
	global_load_dword v4, v9, s[4:5]
	ds_read_u16 v5, v6 offset:8194
	ds_read_u16 v9, v16 offset:2
	s_waitcnt lgkmcnt(0)
	v_add_f16_e32 v10, v5, v9
	v_sub_f16_e32 v5, v9, v5
	s_waitcnt vmcnt(0)
	v_lshrrev_b32_e32 v11, 16, v4
	v_fma_f16 v9, v7, v11, v8
	v_fma_f16 v12, v10, v11, v5
	v_fma_f16 v8, -v7, v11, v8
	v_fma_f16 v5, v10, v11, -v5
	v_fma_f16 v9, -v4, v10, v9
	v_fmac_f16_e32 v12, v7, v4
	v_fmac_f16_e32 v8, v4, v10
	v_fmac_f16_e32 v5, v7, v4
	v_mov_b32_e32 v4, 0
	v_pack_b32_f16 v7, v9, v12
	v_pack_b32_f16 v8, v8, v5
	v_mov_b32_e32 v5, v4
	v_mov_b32_e32 v4, v3
	ds_write_b32 v16, v7
	ds_write_b32 v6, v8 offset:8192
                                        ; implicit-def: $vgpr8
                                        ; implicit-def: $vgpr7
.LBB0_15:
	s_andn2_saveexec_b32 s0, s0
	s_cbranch_execz .LBB0_17
; %bb.16:
	v_pack_b32_f16 v4, v8, v7
	v_mov_b32_e32 v7, 0
	ds_write_b32 v16, v4
	ds_read_b32 v4, v7 offset:4096
	s_waitcnt lgkmcnt(0)
	v_pk_mul_f16 v8, 0xc0004000, v4
	v_mov_b32_e32 v4, 0
	v_mov_b32_e32 v5, 0
	ds_write_b32 v7, v8 offset:4096
.LBB0_17:
	s_or_b32 exec_lo, exec_lo, s0
	v_lshlrev_b64 v[4:5], 2, v[4:5]
	v_lshl_or_b32 v7, v0, 2, 0xc00
	v_add_nc_u32_e32 v17, 0, v7
	v_add_co_u32 v4, s0, s4, v4
	v_add_co_ci_u32_e64 v5, s0, s5, v5, s0
	v_cmp_gt_u32_e64 s0, 0x80, v3
	s_clause 0x1
	global_load_dword v8, v7, s[4:5]
	global_load_dword v4, v[4:5], off offset:1024
	v_lshl_or_b32 v5, v3, 2, 0x800
	global_load_dword v5, v5, s[4:5]
	ds_read_b32 v9, v16 offset:1024
	ds_read_b32 v10, v6 offset:7168
	s_waitcnt lgkmcnt(0)
	v_add_f16_e32 v11, v9, v10
	v_add_f16_sdwa v12, v10, v9 dst_sel:DWORD dst_unused:UNUSED_PAD src0_sel:WORD_1 src1_sel:WORD_1
	v_sub_f16_e32 v13, v9, v10
	v_sub_f16_sdwa v9, v9, v10 dst_sel:DWORD dst_unused:UNUSED_PAD src0_sel:WORD_1 src1_sel:WORD_1
	s_waitcnt vmcnt(2)
	v_lshrrev_b32_e32 v7, 16, v8
	s_waitcnt vmcnt(1)
	v_lshrrev_b32_e32 v14, 16, v4
	v_fma_f16 v10, v13, v14, v11
	v_fma_f16 v15, v12, v14, v9
	v_fma_f16 v11, -v13, v14, v11
	v_fma_f16 v9, v12, v14, -v9
	v_fma_f16 v10, -v4, v12, v10
	v_fmac_f16_e32 v15, v13, v4
	v_fmac_f16_e32 v11, v4, v12
	;; [unrolled: 1-line block ×3, first 2 shown]
	v_pack_b32_f16 v4, v10, v15
	s_waitcnt vmcnt(0)
	v_lshrrev_b32_e32 v10, 16, v5
	v_pack_b32_f16 v9, v11, v9
	ds_write_b32 v16, v4 offset:1024
	ds_write_b32 v6, v9 offset:7168
	ds_read_b32 v4, v16 offset:2048
	ds_read_b32 v9, v6 offset:6144
	s_waitcnt lgkmcnt(0)
	v_add_f16_e32 v11, v4, v9
	v_add_f16_sdwa v12, v9, v4 dst_sel:DWORD dst_unused:UNUSED_PAD src0_sel:WORD_1 src1_sel:WORD_1
	v_sub_f16_e32 v13, v4, v9
	v_sub_f16_sdwa v4, v4, v9 dst_sel:DWORD dst_unused:UNUSED_PAD src0_sel:WORD_1 src1_sel:WORD_1
	v_fma_f16 v9, v13, v10, v11
	v_fma_f16 v14, v12, v10, v4
	v_fma_f16 v11, -v13, v10, v11
	v_fma_f16 v4, v12, v10, -v4
	v_fma_f16 v9, -v5, v12, v9
	v_fmac_f16_e32 v14, v13, v5
	v_fmac_f16_e32 v11, v5, v12
	;; [unrolled: 1-line block ×3, first 2 shown]
	v_pack_b32_f16 v5, v9, v14
	v_pack_b32_f16 v4, v11, v4
	ds_write_b32 v16, v5 offset:2048
	ds_write_b32 v6, v4 offset:6144
	ds_read_b32 v4, v17
	ds_read_b32 v5, v6 offset:5120
	s_waitcnt lgkmcnt(0)
	v_add_f16_e32 v9, v4, v5
	v_add_f16_sdwa v10, v5, v4 dst_sel:DWORD dst_unused:UNUSED_PAD src0_sel:WORD_1 src1_sel:WORD_1
	v_sub_f16_e32 v11, v4, v5
	v_sub_f16_sdwa v4, v4, v5 dst_sel:DWORD dst_unused:UNUSED_PAD src0_sel:WORD_1 src1_sel:WORD_1
	v_fma_f16 v5, v11, v7, v9
	v_fma_f16 v12, v10, v7, v4
	v_fma_f16 v9, -v11, v7, v9
	v_fma_f16 v4, v10, v7, -v4
	v_fma_f16 v5, -v8, v10, v5
	v_fmac_f16_e32 v12, v11, v8
	v_fmac_f16_e32 v9, v8, v10
	;; [unrolled: 1-line block ×3, first 2 shown]
	v_pack_b32_f16 v5, v5, v12
	v_pack_b32_f16 v4, v9, v4
	ds_write_b32 v17, v5
	ds_write_b32 v6, v4 offset:5120
	s_waitcnt lgkmcnt(0)
	s_barrier
	buffer_gl0_inv
	s_barrier
	buffer_gl0_inv
	ds_read2st64_b32 v[4:5], v16 offset1:2
	ds_read2st64_b32 v[6:7], v16 offset0:4 offset1:6
	ds_read2st64_b32 v[8:9], v16 offset0:8 offset1:10
	;; [unrolled: 1-line block ×7, first 2 shown]
	s_waitcnt lgkmcnt(0)
	s_barrier
	buffer_gl0_inv
	v_pk_add_f16 v12, v4, v12 neg_lo:[0,1] neg_hi:[0,1]
	v_pk_add_f16 v14, v8, v14 neg_lo:[0,1] neg_hi:[0,1]
	;; [unrolled: 1-line block ×8, first 2 shown]
	v_add_f16_sdwa v23, v12, v14 dst_sel:DWORD dst_unused:UNUSED_PAD src0_sel:DWORD src1_sel:WORD_1
	v_lshrrev_b32_e32 v24, 16, v12
	v_add_f16_sdwa v25, v19, v21 dst_sel:DWORD dst_unused:UNUSED_PAD src0_sel:DWORD src1_sel:WORD_1
	v_lshrrev_b32_e32 v26, 16, v19
	v_lshrrev_b32_e32 v28, 16, v13
	;; [unrolled: 1-line block ×3, first 2 shown]
	v_pk_fma_f16 v4, v4, 2.0, v12 op_sel_hi:[1,0,1] neg_lo:[0,0,1] neg_hi:[0,0,1]
	v_pk_fma_f16 v8, v8, 2.0, v14 op_sel_hi:[1,0,1] neg_lo:[0,0,1] neg_hi:[0,0,1]
	;; [unrolled: 1-line block ×7, first 2 shown]
	v_add_f16_sdwa v27, v13, v15 dst_sel:DWORD dst_unused:UNUSED_PAD src0_sel:DWORD src1_sel:WORD_1
	v_add_f16_sdwa v29, v20, v22 dst_sel:DWORD dst_unused:UNUSED_PAD src0_sel:DWORD src1_sel:WORD_1
	v_sub_f16_e32 v14, v24, v14
	v_fma_f16 v12, v12, 2.0, -v23
	v_sub_f16_e32 v21, v26, v21
	v_fma_f16 v19, v19, 2.0, -v25
	v_sub_f16_e32 v15, v28, v15
	v_sub_f16_e32 v22, v30, v22
	v_pk_fma_f16 v7, v7, 2.0, v20 op_sel_hi:[1,0,1] neg_lo:[0,0,1] neg_hi:[0,0,1]
	v_pk_add_f16 v8, v4, v8 neg_lo:[0,1] neg_hi:[0,1]
	v_pk_add_f16 v10, v6, v10 neg_lo:[0,1] neg_hi:[0,1]
	;; [unrolled: 1-line block ×3, first 2 shown]
	v_fma_f16 v13, v13, 2.0, -v27
	v_fma_f16 v20, v20, 2.0, -v29
	v_fmamk_f16 v31, v25, 0x39a8, v23
	v_fmamk_f16 v34, v29, 0x39a8, v27
	v_fma_f16 v24, v24, 2.0, -v14
	v_fma_f16 v26, v26, 2.0, -v21
	v_fma_f16 v28, v28, 2.0, -v15
	v_fma_f16 v30, v30, 2.0, -v22
	v_fmamk_f16 v35, v19, 0xb9a8, v12
	v_pk_add_f16 v11, v7, v11 neg_lo:[0,1] neg_hi:[0,1]
	v_pk_fma_f16 v4, v4, 2.0, v8 op_sel_hi:[1,0,1] neg_lo:[0,0,1] neg_hi:[0,0,1]
	v_pk_fma_f16 v6, v6, 2.0, v10 op_sel_hi:[1,0,1] neg_lo:[0,0,1] neg_hi:[0,0,1]
	v_lshrrev_b32_e32 v32, 16, v8
	v_fmamk_f16 v38, v21, 0x39a8, v14
	v_fmac_f16_e32 v31, 0x39a8, v21
	v_fmamk_f16 v39, v20, 0xb9a8, v13
	v_lshrrev_b32_e32 v33, 16, v9
	v_fmamk_f16 v40, v22, 0x39a8, v15
	v_fmac_f16_e32 v34, 0x39a8, v22
	v_fmamk_f16 v42, v26, 0xb9a8, v24
	v_fmac_f16_e32 v35, 0x39a8, v26
	v_fmamk_f16 v26, v30, 0xb9a8, v28
	v_pk_fma_f16 v5, v5, 2.0, v9 op_sel_hi:[1,0,1] neg_lo:[0,0,1] neg_hi:[0,0,1]
	v_pk_fma_f16 v7, v7, 2.0, v11 op_sel_hi:[1,0,1] neg_lo:[0,0,1] neg_hi:[0,0,1]
	v_add_f16_sdwa v37, v8, v10 dst_sel:DWORD dst_unused:UNUSED_PAD src0_sel:DWORD src1_sel:WORD_1
	v_add_f16_sdwa v21, v9, v11 dst_sel:DWORD dst_unused:UNUSED_PAD src0_sel:DWORD src1_sel:WORD_1
	v_pk_add_f16 v41, v4, v6 neg_lo:[0,1] neg_hi:[0,1]
	v_sub_f16_e32 v43, v32, v10
	v_fmac_f16_e32 v38, 0xb9a8, v25
	v_fmac_f16_e32 v39, 0x39a8, v30
	v_sub_f16_e32 v10, v33, v11
	v_fmac_f16_e32 v40, 0xb9a8, v29
	v_fmamk_f16 v25, v34, 0x3b64, v31
	v_fmac_f16_e32 v42, 0xb9a8, v19
	v_fmac_f16_e32 v26, 0xb9a8, v20
	v_fma_f16 v44, v8, 2.0, -v37
	v_fma_f16 v45, v23, 2.0, -v31
	v_pk_add_f16 v23, v5, v7 neg_lo:[0,1] neg_hi:[0,1]
	v_fma_f16 v30, v9, 2.0, -v21
	v_fma_f16 v27, v27, 2.0, -v34
	;; [unrolled: 1-line block ×8, first 2 shown]
	v_lshrrev_b32_e32 v49, 16, v41
	v_fmamk_f16 v36, v40, 0x3b64, v38
	v_fmac_f16_e32 v25, 0x361f, v40
	v_fma_f16 v40, v24, 2.0, -v42
	v_fma_f16 v14, v28, 2.0, -v26
	v_fmamk_f16 v22, v21, 0x39a8, v37
	v_pk_fma_f16 v4, v4, 2.0, v41 op_sel_hi:[1,0,1] neg_lo:[0,0,1] neg_hi:[0,0,1]
	v_pk_fma_f16 v5, v5, 2.0, v23 op_sel_hi:[1,0,1] neg_lo:[0,0,1] neg_hi:[0,0,1]
	v_fmamk_f16 v8, v30, 0xb9a8, v44
	v_fmamk_f16 v9, v27, 0xb61f, v45
	v_add_f16_sdwa v6, v41, v23 dst_sel:DWORD dst_unused:UNUSED_PAD src0_sel:DWORD src1_sel:WORD_1
	v_fmamk_f16 v7, v39, 0x361f, v35
	v_fmamk_f16 v33, v10, 0x39a8, v43
	;; [unrolled: 1-line block ×5, first 2 shown]
	v_sub_f16_e32 v20, v49, v23
	v_fmamk_f16 v32, v26, 0x361f, v42
	v_fmamk_f16 v23, v14, 0xbb64, v40
	v_fmac_f16_e32 v22, 0x39a8, v10
	v_pk_add_f16 v10, v4, v5 neg_lo:[0,1] neg_hi:[0,1]
	v_fmac_f16_e32 v8, 0x39a8, v12
	v_fmac_f16_e32 v9, 0x3b64, v13
	;; [unrolled: 1-line block ×10, first 2 shown]
	v_fma_f16 v12, v41, 2.0, -v6
	v_fma_f16 v21, v37, 2.0, -v22
	;; [unrolled: 1-line block ×3, first 2 shown]
	v_pk_fma_f16 v4, v4, 2.0, v10 op_sel_hi:[1,0,1] neg_lo:[0,0,1] neg_hi:[0,0,1]
	v_fma_f16 v14, v44, 2.0, -v8
	v_fma_f16 v15, v45, 2.0, -v9
	;; [unrolled: 1-line block ×11, first 2 shown]
	s_and_saveexec_b32 s1, s0
	s_cbranch_execz .LBB0_19
; %bb.18:
	v_mad_u32_u24 v37, v3, 60, v16
	v_perm_b32 v38, v28, v5, 0x5040100
	v_perm_b32 v39, v34, v15, 0x5040100
	;; [unrolled: 1-line block ×5, first 2 shown]
	ds_write2_b32 v37, v4, v38 offset1:1
	ds_write2_b32 v37, v40, v39 offset0:2 offset1:3
	ds_write2_b32 v37, v42, v41 offset0:4 offset1:5
	v_perm_b32 v38, v35, v26, 0x5040100
	v_perm_b32 v39, v31, v21, 0x5040100
	;; [unrolled: 1-line block ×9, first 2 shown]
	ds_write2_b32 v37, v39, v38 offset0:6 offset1:7
	ds_write2_b32 v37, v10, v40 offset0:8 offset1:9
	;; [unrolled: 1-line block ×5, first 2 shown]
.LBB0_19:
	s_or_b32 exec_lo, exec_lo, s1
	s_waitcnt lgkmcnt(0)
	s_barrier
	buffer_gl0_inv
	s_and_saveexec_b32 s1, s0
	s_cbranch_execz .LBB0_21
; %bb.20:
	v_or_b32_e32 v20, 0x1e00, v18
	v_or_b32_e32 v19, 0xe00, v18
	v_add_nc_u32_e32 v18, 0, v18
	ds_read2st64_b32 v[4:5], v16 offset1:2
	ds_read2st64_b32 v[10:11], v16 offset0:16 offset1:18
	ds_read2st64_b32 v[8:9], v16 offset0:20 offset1:22
	v_add_nc_u32_e32 v20, 0, v20
	v_add_nc_u32_e32 v19, 0, v19
	ds_read2st64_b32 v[6:7], v16 offset0:24 offset1:26
	ds_read2st64_b32 v[14:15], v16 offset0:4 offset1:6
	;; [unrolled: 1-line block ×3, first 2 shown]
	ds_read_b32 v21, v17
	ds_read_b32 v22, v18 offset:7168
	ds_read_b32 v25, v20
	ds_read_b32 v26, v19
	s_waitcnt lgkmcnt(8)
	v_lshrrev_b32_e32 v23, 16, v11
	s_waitcnt lgkmcnt(7)
	v_lshrrev_b32_e32 v19, 16, v8
	v_lshrrev_b32_e32 v24, 16, v9
	s_waitcnt lgkmcnt(6)
	v_lshrrev_b32_e32 v20, 16, v6
	v_lshrrev_b32_e32 v32, 16, v7
	;; [unrolled: 1-line block ×3, first 2 shown]
	s_waitcnt lgkmcnt(5)
	v_lshrrev_b32_e32 v30, 16, v14
	v_lshrrev_b32_e32 v34, 16, v15
	s_waitcnt lgkmcnt(4)
	v_lshrrev_b32_e32 v27, 16, v12
	v_lshrrev_b32_e32 v29, 16, v13
	s_waitcnt lgkmcnt(3)
	v_lshrrev_b32_e32 v31, 16, v21
	s_waitcnt lgkmcnt(2)
	;; [unrolled: 2-line block ×4, first 2 shown]
	v_lshrrev_b32_e32 v35, 16, v26
.LBB0_21:
	s_or_b32 exec_lo, exec_lo, s1
	s_barrier
	buffer_gl0_inv
	s_and_saveexec_b32 s1, s0
	s_cbranch_execz .LBB0_23
; %bb.22:
	v_and_b32_e32 v18, 15, v0
	v_lshlrev_b32_e32 v52, 4, v0
	v_lshrrev_b32_e32 v53, 16, v4
	v_mul_u32_u24_e32 v37, 15, v18
	v_and_or_b32 v18, 0x700, v52, v18
	v_lshrrev_b32_e32 v52, 16, v10
	v_lshlrev_b32_e32 v45, 2, v37
	v_lshl_add_u32 v18, v18, 2, 0
	s_clause 0x3
	global_load_dwordx3 v[49:51], v45, s[8:9] offset:48
	global_load_dwordx4 v[37:40], v45, s[8:9]
	global_load_dwordx4 v[41:44], v45, s[8:9] offset:32
	global_load_dwordx4 v[45:48], v45, s[8:9] offset:16
	s_waitcnt vmcnt(3)
	v_mul_f16_sdwa v54, v36, v51 dst_sel:DWORD dst_unused:UNUSED_PAD src0_sel:DWORD src1_sel:WORD_1
	v_mul_f16_sdwa v56, v25, v51 dst_sel:DWORD dst_unused:UNUSED_PAD src0_sel:DWORD src1_sel:WORD_1
	;; [unrolled: 1-line block ×4, first 2 shown]
	s_waitcnt vmcnt(2)
	v_mul_f16_sdwa v63, v30, v38 dst_sel:DWORD dst_unused:UNUSED_PAD src0_sel:DWORD src1_sel:WORD_1
	v_mul_f16_sdwa v55, v32, v49 dst_sel:DWORD dst_unused:UNUSED_PAD src0_sel:DWORD src1_sel:WORD_1
	;; [unrolled: 1-line block ×4, first 2 shown]
	s_waitcnt vmcnt(1)
	v_mul_f16_sdwa v61, v9, v43 dst_sel:DWORD dst_unused:UNUSED_PAD src0_sel:DWORD src1_sel:WORD_1
	v_mul_f16_sdwa v62, v34, v39 dst_sel:DWORD dst_unused:UNUSED_PAD src0_sel:DWORD src1_sel:WORD_1
	;; [unrolled: 1-line block ×3, first 2 shown]
	v_fmac_f16_e32 v54, v25, v51
	v_mul_f16_sdwa v25, v19, v42 dst_sel:DWORD dst_unused:UNUSED_PAD src0_sel:DWORD src1_sel:WORD_1
	v_fma_f16 v36, v36, v51, -v56
	v_mul_f16_sdwa v51, v14, v38 dst_sel:DWORD dst_unused:UNUSED_PAD src0_sel:DWORD src1_sel:WORD_1
	v_fmac_f16_e32 v58, v22, v50
	s_waitcnt vmcnt(0)
	v_mul_f16_sdwa v22, v52, v48 dst_sel:DWORD dst_unused:UNUSED_PAD src0_sel:DWORD src1_sel:WORD_1
	v_fma_f16 v33, v33, v50, -v59
	v_mul_f16_sdwa v50, v23, v41 dst_sel:DWORD dst_unused:UNUSED_PAD src0_sel:DWORD src1_sel:WORD_1
	v_mul_f16_sdwa v59, v35, v47 dst_sel:DWORD dst_unused:UNUSED_PAD src0_sel:DWORD src1_sel:WORD_1
	v_fmac_f16_e32 v63, v14, v38
	v_mul_f16_sdwa v14, v26, v47 dst_sel:DWORD dst_unused:UNUSED_PAD src0_sel:DWORD src1_sel:WORD_1
	v_fma_f16 v32, v32, v49, -v60
	v_mul_f16_sdwa v56, v8, v42 dst_sel:DWORD dst_unused:UNUSED_PAD src0_sel:DWORD src1_sel:WORD_1
	v_fmac_f16_e32 v55, v7, v49
	v_mul_f16_sdwa v7, v11, v41 dst_sel:DWORD dst_unused:UNUSED_PAD src0_sel:DWORD src1_sel:WORD_1
	v_mul_f16_sdwa v49, v10, v48 dst_sel:DWORD dst_unused:UNUSED_PAD src0_sel:DWORD src1_sel:WORD_1
	v_fmac_f16_e32 v62, v15, v39
	v_mul_f16_sdwa v15, v5, v37 dst_sel:DWORD dst_unused:UNUSED_PAD src0_sel:DWORD src1_sel:WORD_1
	v_fmac_f16_e32 v64, v9, v43
	v_fmac_f16_e32 v25, v8, v42
	v_mul_f16_sdwa v8, v29, v45 dst_sel:DWORD dst_unused:UNUSED_PAD src0_sel:DWORD src1_sel:WORD_1
	v_mul_f16_sdwa v9, v31, v46 dst_sel:DWORD dst_unused:UNUSED_PAD src0_sel:DWORD src1_sel:WORD_1
	v_fmac_f16_e32 v22, v10, v48
	v_fmac_f16_e32 v50, v11, v41
	v_mul_f16_sdwa v10, v12, v40 dst_sel:DWORD dst_unused:UNUSED_PAD src0_sel:DWORD src1_sel:WORD_1
	v_mul_f16_sdwa v11, v21, v46 dst_sel:DWORD dst_unused:UNUSED_PAD src0_sel:DWORD src1_sel:WORD_1
	v_fma_f16 v34, v34, v39, -v57
	v_mul_f16_sdwa v39, v6, v44 dst_sel:DWORD dst_unused:UNUSED_PAD src0_sel:DWORD src1_sel:WORD_1
	v_fma_f16 v24, v24, v43, -v61
	v_mul_f16_sdwa v43, v28, v37 dst_sel:DWORD dst_unused:UNUSED_PAD src0_sel:DWORD src1_sel:WORD_1
	v_fmac_f16_e32 v59, v26, v47
	v_mul_f16_sdwa v26, v13, v45 dst_sel:DWORD dst_unused:UNUSED_PAD src0_sel:DWORD src1_sel:WORD_1
	v_fma_f16 v14, v35, v47, -v14
	v_mul_f16_sdwa v35, v27, v40 dst_sel:DWORD dst_unused:UNUSED_PAD src0_sel:DWORD src1_sel:WORD_1
	v_fma_f16 v30, v30, v38, -v51
	;; [unrolled: 2-line block ×3, first 2 shown]
	v_fma_f16 v7, v23, v41, -v7
	v_fmac_f16_e32 v9, v21, v46
	v_fma_f16 v15, v28, v37, -v15
	v_fma_f16 v11, v31, v46, -v11
	;; [unrolled: 1-line block ×4, first 2 shown]
	v_fmac_f16_e32 v8, v13, v45
	v_fmac_f16_e32 v43, v5, v37
	v_fma_f16 v5, v29, v45, -v26
	v_fma_f16 v13, v52, v48, -v49
	v_fmac_f16_e32 v35, v12, v40
	v_fmac_f16_e32 v38, v6, v44
	v_sub_f16_e32 v6, v15, v7
	v_sub_f16_e32 v7, v8, v55
	;; [unrolled: 1-line block ×18, first 2 shown]
	v_add_f16_e32 v36, v23, v24
	v_add_f16_e32 v37, v22, v20
	v_sub_f16_e32 v38, v19, v26
	v_add_f16_e32 v39, v25, v27
	v_add_f16_e32 v40, v28, v29
	v_sub_f16_e32 v41, v13, v31
	v_fma_f16 v15, v15, 2.0, -v6
	v_fma_f16 v5, v5, 2.0, -v29
	;; [unrolled: 1-line block ×16, first 2 shown]
	v_fmamk_f16 v26, v33, 0x39a8, v32
	v_fmamk_f16 v34, v39, 0x39a8, v37
	;; [unrolled: 1-line block ×4, first 2 shown]
	v_fma_f16 v6, v6, 2.0, -v32
	v_fma_f16 v12, v12, 2.0, -v33
	;; [unrolled: 1-line block ×8, first 2 shown]
	v_sub_f16_e32 v5, v15, v5
	v_sub_f16_e32 v21, v29, v21
	;; [unrolled: 1-line block ×8, first 2 shown]
	v_fmac_f16_e32 v26, 0xb9a8, v36
	v_fmac_f16_e32 v34, 0x39a8, v38
	;; [unrolled: 1-line block ×4, first 2 shown]
	v_fmamk_f16 v33, v12, 0xb9a8, v6
	v_fmamk_f16 v36, v25, 0xb9a8, v22
	;; [unrolled: 1-line block ×4, first 2 shown]
	v_sub_f16_e32 v43, v5, v21
	v_add_f16_e32 v44, v31, v11
	v_add_f16_e32 v45, v7, v14
	v_sub_f16_e32 v46, v10, v9
	v_fma_f16 v4, v4, 2.0, -v31
	v_fma_f16 v9, v20, 2.0, -v9
	;; [unrolled: 1-line block ×8, first 2 shown]
	v_fmac_f16_e32 v33, 0xb9a8, v23
	v_fmac_f16_e32 v36, 0x39a8, v19
	;; [unrolled: 1-line block ×4, first 2 shown]
	v_fmamk_f16 v12, v35, 0x3b64, v34
	v_fmamk_f16 v19, v26, 0x3b64, v42
	;; [unrolled: 1-line block ×4, first 2 shown]
	v_fma_f16 v5, v5, 2.0, -v43
	v_fma_f16 v31, v31, 2.0, -v44
	;; [unrolled: 1-line block ×4, first 2 shown]
	v_sub_f16_e32 v9, v4, v9
	v_sub_f16_e32 v8, v15, v8
	;; [unrolled: 1-line block ×4, first 2 shown]
	v_fma_f16 v24, v32, 2.0, -v26
	v_fma_f16 v27, v37, 2.0, -v34
	;; [unrolled: 1-line block ×4, first 2 shown]
	v_fmac_f16_e32 v12, 0x361f, v26
	v_fmac_f16_e32 v19, 0xb61f, v35
	;; [unrolled: 1-line block ×4, first 2 shown]
	v_fmamk_f16 v26, v7, 0xb9a8, v31
	v_fmamk_f16 v35, v5, 0xb9a8, v10
	v_add_f16_e32 v43, v9, v8
	v_sub_f16_e32 v45, v11, v21
	v_fma_f16 v22, v22, 2.0, -v36
	v_fma_f16 v6, v6, 2.0, -v33
	v_fma_f16 v28, v28, 2.0, -v38
	v_fma_f16 v13, v13, 2.0, -v39
	v_fmamk_f16 v32, v29, 0xb61f, v27
	v_fmamk_f16 v37, v24, 0xb61f, v30
	v_fma_f16 v4, v4, 2.0, -v9
	v_fma_f16 v20, v20, 2.0, -v21
	;; [unrolled: 1-line block ×4, first 2 shown]
	v_fmamk_f16 v40, v38, 0x361f, v36
	v_fmamk_f16 v41, v33, 0x361f, v39
	v_fmac_f16_e32 v26, 0x39a8, v5
	v_fmac_f16_e32 v35, 0xb9a8, v7
	v_fma_f16 v5, v9, 2.0, -v43
	v_fma_f16 v7, v11, 2.0, -v45
	v_fmamk_f16 v9, v28, 0xbb64, v22
	v_fmamk_f16 v11, v6, 0xbb64, v13
	v_fmac_f16_e32 v32, 0x3b64, v24
	v_fmac_f16_e32 v37, 0xbb64, v29
	v_sub_f16_e32 v20, v4, v20
	v_sub_f16_e32 v8, v14, v8
	v_fmac_f16_e32 v40, 0x3b64, v33
	v_fmac_f16_e32 v41, 0xbb64, v38
	v_fma_f16 v15, v34, 2.0, -v12
	v_fma_f16 v21, v42, 2.0, -v19
	;; [unrolled: 1-line block ×4, first 2 shown]
	v_fmac_f16_e32 v9, 0x361f, v6
	v_fmac_f16_e32 v11, 0xb61f, v28
	v_fma_f16 v27, v27, 2.0, -v32
	v_fma_f16 v30, v30, 2.0, -v37
	;; [unrolled: 1-line block ×6, first 2 shown]
	v_pack_b32_f16 v23, v23, v25
	v_pack_b32_f16 v12, v12, v19
	v_fma_f16 v19, v36, 2.0, -v40
	v_fma_f16 v25, v39, 2.0, -v41
	v_pack_b32_f16 v5, v5, v7
	v_pack_b32_f16 v7, v24, v29
	;; [unrolled: 1-line block ×3, first 2 shown]
	v_fma_f16 v22, v22, 2.0, -v9
	v_fma_f16 v13, v13, 2.0, -v11
	v_pack_b32_f16 v33, v43, v45
	v_pack_b32_f16 v8, v20, v8
	;; [unrolled: 1-line block ×9, first 2 shown]
	ds_write2_b32 v18, v7, v14 offset0:96 offset1:112
	v_pack_b32_f16 v7, v9, v11
	v_pack_b32_f16 v9, v22, v13
	ds_write2_b32 v18, v15, v20 offset0:160 offset1:176
	ds_write2_b32 v18, v33, v21 offset0:192 offset1:208
	;; [unrolled: 1-line block ×5, first 2 shown]
	ds_write2_b32 v18, v4, v9 offset1:16
	ds_write2_b32 v18, v23, v12 offset0:224 offset1:240
.LBB0_23:
	s_or_b32 exec_lo, exec_lo, s1
	v_mul_u32_u24_e32 v4, 7, v3
	s_waitcnt lgkmcnt(0)
	s_barrier
	buffer_gl0_inv
	v_lshl_add_u32 v0, v0, 2, 0
	v_lshlrev_b32_e32 v8, 2, v4
	s_clause 0x1
	global_load_dwordx4 v[4:7], v8, s[8:9] offset:960
	global_load_dwordx3 v[8:10], v8, s[8:9] offset:976
	ds_read2st64_b32 v[11:12], v16 offset0:24 offset1:28
	ds_read2st64_b32 v[13:14], v16 offset1:4
	ds_read2st64_b32 v[18:19], v16 offset0:8 offset1:12
	ds_read2st64_b32 v[20:21], v16 offset0:16 offset1:20
	ds_read_u16 v15, v16 offset:6146
	s_waitcnt vmcnt(0) lgkmcnt(0)
	s_barrier
	buffer_gl0_inv
	v_lshrrev_b32_e32 v22, 16, v12
	v_lshrrev_b32_e32 v23, 16, v14
	;; [unrolled: 1-line block ×7, first 2 shown]
	v_mul_f16_sdwa v29, v4, v23 dst_sel:DWORD dst_unused:UNUSED_PAD src0_sel:WORD_1 src1_sel:DWORD
	v_mul_f16_sdwa v30, v4, v14 dst_sel:DWORD dst_unused:UNUSED_PAD src0_sel:WORD_1 src1_sel:DWORD
	;; [unrolled: 1-line block ×10, first 2 shown]
	v_mul_f16_sdwa v39, v15, v9 dst_sel:DWORD dst_unused:UNUSED_PAD src0_sel:DWORD src1_sel:WORD_1
	v_mul_f16_sdwa v40, v9, v11 dst_sel:DWORD dst_unused:UNUSED_PAD src0_sel:WORD_1 src1_sel:DWORD
	v_mul_f16_sdwa v41, v22, v10 dst_sel:DWORD dst_unused:UNUSED_PAD src0_sel:DWORD src1_sel:WORD_1
	v_mul_f16_sdwa v42, v12, v10 dst_sel:DWORD dst_unused:UNUSED_PAD src0_sel:DWORD src1_sel:WORD_1
	v_fmac_f16_e32 v29, v4, v14
	v_fma_f16 v4, v4, v23, -v30
	v_fmac_f16_e32 v31, v5, v18
	v_fma_f16 v5, v5, v24, -v32
	v_fmac_f16_e32 v33, v6, v19
	v_fma_f16 v6, v6, v25, -v34
	v_fmac_f16_e32 v35, v7, v20
	v_fma_f16 v7, v7, v26, -v36
	v_fmac_f16_e32 v37, v8, v21
	v_fma_f16 v8, v8, v27, -v38
	v_fmac_f16_e32 v39, v9, v11
	v_fma_f16 v9, v15, v9, -v40
	v_fmac_f16_e32 v41, v12, v10
	v_fma_f16 v10, v22, v10, -v42
	v_sub_f16_e32 v11, v13, v35
	v_sub_f16_e32 v7, v28, v7
	;; [unrolled: 1-line block ×8, first 2 shown]
	v_fma_f16 v13, v13, 2.0, -v11
	v_fma_f16 v18, v28, 2.0, -v7
	;; [unrolled: 1-line block ×8, first 2 shown]
	v_add_f16_e32 v9, v11, v9
	v_sub_f16_e32 v12, v7, v12
	v_add_f16_e32 v10, v14, v10
	v_sub_f16_e32 v15, v8, v15
	v_sub_f16_e32 v19, v13, v19
	v_sub_f16_e32 v5, v18, v5
	v_fma_f16 v11, v11, 2.0, -v9
	v_fma_f16 v7, v7, 2.0, -v12
	v_sub_f16_e32 v21, v20, v21
	v_sub_f16_e32 v6, v4, v6
	v_fma_f16 v14, v14, 2.0, -v10
	v_fma_f16 v8, v8, 2.0, -v15
	v_fmamk_f16 v22, v10, 0x39a8, v9
	v_fmamk_f16 v23, v15, 0x39a8, v12
	v_fma_f16 v13, v13, 2.0, -v19
	v_fma_f16 v18, v18, 2.0, -v5
	;; [unrolled: 1-line block ×4, first 2 shown]
	v_fmamk_f16 v24, v14, 0xb9a8, v11
	v_fmamk_f16 v25, v8, 0xb9a8, v7
	v_add_f16_e32 v6, v19, v6
	v_sub_f16_e32 v21, v5, v21
	v_fmac_f16_e32 v22, 0x39a8, v15
	v_fmac_f16_e32 v23, 0xb9a8, v10
	v_sub_f16_e32 v10, v13, v20
	v_sub_f16_e32 v4, v18, v4
	v_fmac_f16_e32 v24, 0x39a8, v8
	v_fmac_f16_e32 v25, 0xb9a8, v14
	v_fma_f16 v8, v19, 2.0, -v6
	v_fma_f16 v5, v5, 2.0, -v21
	v_fma_f16 v9, v9, 2.0, -v22
	v_fma_f16 v12, v12, 2.0, -v23
	v_fma_f16 v13, v13, 2.0, -v10
	v_fma_f16 v14, v18, 2.0, -v4
	v_fma_f16 v11, v11, 2.0, -v24
	v_fma_f16 v7, v7, 2.0, -v25
	v_pack_b32_f16 v5, v8, v5
	v_pack_b32_f16 v8, v9, v12
	;; [unrolled: 1-line block ×8, first 2 shown]
	ds_write_b32 v16, v5 offset:2048
	ds_write2st64_b32 v16, v9, v7 offset1:4
	ds_write_b32 v17, v8
	ds_write2st64_b32 v16, v4, v10 offset0:16 offset1:20
	ds_write_b32 v16, v6 offset:6144
	ds_write_b32 v0, v11 offset:7168
	s_waitcnt lgkmcnt(0)
	s_barrier
	buffer_gl0_inv
	s_and_saveexec_b32 s0, vcc_lo
	s_cbranch_execz .LBB0_25
; %bb.24:
	v_lshl_add_u32 v15, v3, 2, 0
	v_mov_b32_e32 v4, 0
	v_add_co_u32 v17, vcc_lo, s2, v1
	v_add_nc_u32_e32 v5, 0x100, v3
	ds_read2st64_b32 v[0:1], v15 offset1:4
	v_mov_b32_e32 v6, v4
	ds_read2st64_b32 v[11:12], v15 offset0:8 offset1:12
	v_lshlrev_b64 v[7:8], 2, v[3:4]
	v_add_nc_u32_e32 v9, 0x200, v3
	v_mov_b32_e32 v10, v4
	v_add_co_ci_u32_e32 v18, vcc_lo, s3, v2, vcc_lo
	v_lshlrev_b64 v[5:6], 2, v[5:6]
	v_add_co_u32 v7, vcc_lo, v17, v7
	v_lshlrev_b64 v[9:10], 2, v[9:10]
	v_add_co_ci_u32_e32 v8, vcc_lo, v18, v8, vcc_lo
	v_add_co_u32 v5, vcc_lo, v17, v5
	v_add_co_ci_u32_e32 v6, vcc_lo, v18, v6, vcc_lo
	v_add_co_u32 v9, vcc_lo, v17, v9
	v_add_co_ci_u32_e32 v10, vcc_lo, v18, v10, vcc_lo
	v_add_nc_u32_e32 v13, 0x300, v3
	v_mov_b32_e32 v14, v4
	s_waitcnt lgkmcnt(1)
	global_store_dword v[7:8], v0, off
	global_store_dword v[5:6], v1, off
	s_waitcnt lgkmcnt(0)
	global_store_dword v[9:10], v11, off
	v_add_nc_u32_e32 v5, 0x400, v3
	v_mov_b32_e32 v6, v4
	v_add_nc_u32_e32 v7, 0x500, v3
	v_lshlrev_b64 v[0:1], 2, v[13:14]
	v_mov_b32_e32 v8, v4
	ds_read2st64_b32 v[9:10], v15 offset0:16 offset1:20
	v_lshlrev_b64 v[5:6], 2, v[5:6]
	v_add_nc_u32_e32 v13, 0x600, v3
	ds_read2st64_b32 v[15:16], v15 offset0:24 offset1:28
	v_add_co_u32 v0, vcc_lo, v17, v0
	v_lshlrev_b64 v[7:8], 2, v[7:8]
	v_add_nc_u32_e32 v3, 0x700, v3
	v_add_co_ci_u32_e32 v1, vcc_lo, v18, v1, vcc_lo
	v_add_co_u32 v5, vcc_lo, v17, v5
	v_lshlrev_b64 v[13:14], 2, v[13:14]
	v_add_co_ci_u32_e32 v6, vcc_lo, v18, v6, vcc_lo
	v_add_co_u32 v7, vcc_lo, v17, v7
	v_lshlrev_b64 v[2:3], 2, v[3:4]
	v_add_co_ci_u32_e32 v8, vcc_lo, v18, v8, vcc_lo
	v_add_co_u32 v13, vcc_lo, v17, v13
	v_add_co_ci_u32_e32 v14, vcc_lo, v18, v14, vcc_lo
	v_add_co_u32 v2, vcc_lo, v17, v2
	v_add_co_ci_u32_e32 v3, vcc_lo, v18, v3, vcc_lo
	global_store_dword v[0:1], v12, off
	s_waitcnt lgkmcnt(1)
	global_store_dword v[5:6], v9, off
	global_store_dword v[7:8], v10, off
	s_waitcnt lgkmcnt(0)
	global_store_dword v[13:14], v15, off
	global_store_dword v[2:3], v16, off
.LBB0_25:
	s_endpgm
	.section	.rodata,"a",@progbits
	.p2align	6, 0x0
	.amdhsa_kernel fft_rtc_back_len2048_factors_16_16_8_wgs_256_tpt_256_halfLds_half_ip_CI_unitstride_sbrr_C2R_dirReg
		.amdhsa_group_segment_fixed_size 0
		.amdhsa_private_segment_fixed_size 0
		.amdhsa_kernarg_size 88
		.amdhsa_user_sgpr_count 6
		.amdhsa_user_sgpr_private_segment_buffer 1
		.amdhsa_user_sgpr_dispatch_ptr 0
		.amdhsa_user_sgpr_queue_ptr 0
		.amdhsa_user_sgpr_kernarg_segment_ptr 1
		.amdhsa_user_sgpr_dispatch_id 0
		.amdhsa_user_sgpr_flat_scratch_init 0
		.amdhsa_user_sgpr_private_segment_size 0
		.amdhsa_wavefront_size32 1
		.amdhsa_uses_dynamic_stack 0
		.amdhsa_system_sgpr_private_segment_wavefront_offset 0
		.amdhsa_system_sgpr_workgroup_id_x 1
		.amdhsa_system_sgpr_workgroup_id_y 0
		.amdhsa_system_sgpr_workgroup_id_z 0
		.amdhsa_system_sgpr_workgroup_info 0
		.amdhsa_system_vgpr_workitem_id 0
		.amdhsa_next_free_vgpr 65
		.amdhsa_next_free_sgpr 21
		.amdhsa_reserve_vcc 1
		.amdhsa_reserve_flat_scratch 0
		.amdhsa_float_round_mode_32 0
		.amdhsa_float_round_mode_16_64 0
		.amdhsa_float_denorm_mode_32 3
		.amdhsa_float_denorm_mode_16_64 3
		.amdhsa_dx10_clamp 1
		.amdhsa_ieee_mode 1
		.amdhsa_fp16_overflow 0
		.amdhsa_workgroup_processor_mode 1
		.amdhsa_memory_ordered 1
		.amdhsa_forward_progress 0
		.amdhsa_shared_vgpr_count 0
		.amdhsa_exception_fp_ieee_invalid_op 0
		.amdhsa_exception_fp_denorm_src 0
		.amdhsa_exception_fp_ieee_div_zero 0
		.amdhsa_exception_fp_ieee_overflow 0
		.amdhsa_exception_fp_ieee_underflow 0
		.amdhsa_exception_fp_ieee_inexact 0
		.amdhsa_exception_int_div_zero 0
	.end_amdhsa_kernel
	.text
.Lfunc_end0:
	.size	fft_rtc_back_len2048_factors_16_16_8_wgs_256_tpt_256_halfLds_half_ip_CI_unitstride_sbrr_C2R_dirReg, .Lfunc_end0-fft_rtc_back_len2048_factors_16_16_8_wgs_256_tpt_256_halfLds_half_ip_CI_unitstride_sbrr_C2R_dirReg
                                        ; -- End function
	.section	.AMDGPU.csdata,"",@progbits
; Kernel info:
; codeLenInByte = 6744
; NumSgprs: 23
; NumVgprs: 65
; ScratchSize: 0
; MemoryBound: 0
; FloatMode: 240
; IeeeMode: 1
; LDSByteSize: 0 bytes/workgroup (compile time only)
; SGPRBlocks: 2
; VGPRBlocks: 8
; NumSGPRsForWavesPerEU: 23
; NumVGPRsForWavesPerEU: 65
; Occupancy: 12
; WaveLimiterHint : 1
; COMPUTE_PGM_RSRC2:SCRATCH_EN: 0
; COMPUTE_PGM_RSRC2:USER_SGPR: 6
; COMPUTE_PGM_RSRC2:TRAP_HANDLER: 0
; COMPUTE_PGM_RSRC2:TGID_X_EN: 1
; COMPUTE_PGM_RSRC2:TGID_Y_EN: 0
; COMPUTE_PGM_RSRC2:TGID_Z_EN: 0
; COMPUTE_PGM_RSRC2:TIDIG_COMP_CNT: 0
	.text
	.p2alignl 6, 3214868480
	.fill 48, 4, 3214868480
	.type	__hip_cuid_94c44bffab61e050,@object ; @__hip_cuid_94c44bffab61e050
	.section	.bss,"aw",@nobits
	.globl	__hip_cuid_94c44bffab61e050
__hip_cuid_94c44bffab61e050:
	.byte	0                               ; 0x0
	.size	__hip_cuid_94c44bffab61e050, 1

	.ident	"AMD clang version 19.0.0git (https://github.com/RadeonOpenCompute/llvm-project roc-6.4.0 25133 c7fe45cf4b819c5991fe208aaa96edf142730f1d)"
	.section	".note.GNU-stack","",@progbits
	.addrsig
	.addrsig_sym __hip_cuid_94c44bffab61e050
	.amdgpu_metadata
---
amdhsa.kernels:
  - .args:
      - .actual_access:  read_only
        .address_space:  global
        .offset:         0
        .size:           8
        .value_kind:     global_buffer
      - .offset:         8
        .size:           8
        .value_kind:     by_value
      - .actual_access:  read_only
        .address_space:  global
        .offset:         16
        .size:           8
        .value_kind:     global_buffer
      - .actual_access:  read_only
        .address_space:  global
        .offset:         24
        .size:           8
        .value_kind:     global_buffer
      - .offset:         32
        .size:           8
        .value_kind:     by_value
      - .actual_access:  read_only
        .address_space:  global
        .offset:         40
        .size:           8
        .value_kind:     global_buffer
      - .actual_access:  read_only
        .address_space:  global
        .offset:         48
        .size:           8
        .value_kind:     global_buffer
      - .offset:         56
        .size:           4
        .value_kind:     by_value
      - .actual_access:  read_only
        .address_space:  global
        .offset:         64
        .size:           8
        .value_kind:     global_buffer
      - .actual_access:  read_only
        .address_space:  global
        .offset:         72
        .size:           8
        .value_kind:     global_buffer
      - .address_space:  global
        .offset:         80
        .size:           8
        .value_kind:     global_buffer
    .group_segment_fixed_size: 0
    .kernarg_segment_align: 8
    .kernarg_segment_size: 88
    .language:       OpenCL C
    .language_version:
      - 2
      - 0
    .max_flat_workgroup_size: 256
    .name:           fft_rtc_back_len2048_factors_16_16_8_wgs_256_tpt_256_halfLds_half_ip_CI_unitstride_sbrr_C2R_dirReg
    .private_segment_fixed_size: 0
    .sgpr_count:     23
    .sgpr_spill_count: 0
    .symbol:         fft_rtc_back_len2048_factors_16_16_8_wgs_256_tpt_256_halfLds_half_ip_CI_unitstride_sbrr_C2R_dirReg.kd
    .uniform_work_group_size: 1
    .uses_dynamic_stack: false
    .vgpr_count:     65
    .vgpr_spill_count: 0
    .wavefront_size: 32
    .workgroup_processor_mode: 1
amdhsa.target:   amdgcn-amd-amdhsa--gfx1030
amdhsa.version:
  - 1
  - 2
...

	.end_amdgpu_metadata
